;; amdgpu-corpus repo=ROCm/rocFFT kind=compiled arch=gfx906 opt=O3
	.text
	.amdgcn_target "amdgcn-amd-amdhsa--gfx906"
	.amdhsa_code_object_version 6
	.protected	bluestein_single_back_len800_dim1_sp_op_CI_CI ; -- Begin function bluestein_single_back_len800_dim1_sp_op_CI_CI
	.globl	bluestein_single_back_len800_dim1_sp_op_CI_CI
	.p2align	8
	.type	bluestein_single_back_len800_dim1_sp_op_CI_CI,@function
bluestein_single_back_len800_dim1_sp_op_CI_CI: ; @bluestein_single_back_len800_dim1_sp_op_CI_CI
; %bb.0:
	s_load_dwordx4 s[0:3], s[4:5], 0x28
	v_mul_u32_u24_e32 v1, 0x19a, v0
	v_add_u32_sdwa v56, s6, v1 dst_sel:DWORD dst_unused:UNUSED_PAD src0_sel:DWORD src1_sel:WORD_1
	v_mov_b32_e32 v57, 0
	s_waitcnt lgkmcnt(0)
	v_cmp_gt_u64_e32 vcc, s[0:1], v[56:57]
	s_and_saveexec_b64 s[0:1], vcc
	s_cbranch_execz .LBB0_23
; %bb.1:
	s_load_dwordx2 s[8:9], s[4:5], 0x0
	s_load_dwordx2 s[10:11], s[4:5], 0x38
	s_movk_i32 s0, 0xa0
	v_mul_lo_u16_sdwa v1, v1, s0 dst_sel:DWORD dst_unused:UNUSED_PAD src0_sel:WORD_1 src1_sel:DWORD
	v_sub_u16_e32 v60, v0, v1
	v_cmp_gt_u16_e64 s[0:1], 50, v60
	v_lshlrev_b32_e32 v59, 3, v60
	s_and_saveexec_b64 s[6:7], s[0:1]
	s_cbranch_execz .LBB0_3
; %bb.2:
	s_load_dwordx2 s[12:13], s[4:5], 0x18
	s_waitcnt lgkmcnt(0)
	v_mov_b32_e32 v46, s9
	s_load_dwordx4 s[12:15], s[12:13], 0x0
	s_waitcnt lgkmcnt(0)
	v_mad_u64_u32 v[0:1], s[16:17], s14, v56, 0
	v_mad_u64_u32 v[2:3], s[16:17], s12, v60, 0
	;; [unrolled: 1-line block ×4, first 2 shown]
	v_mov_b32_e32 v1, v4
	v_lshlrev_b64 v[0:1], 3, v[0:1]
	v_mov_b32_e32 v3, v5
	v_mov_b32_e32 v6, s3
	v_lshlrev_b64 v[2:3], 3, v[2:3]
	v_add_co_u32_e32 v0, vcc, s2, v0
	v_addc_co_u32_e32 v1, vcc, v6, v1, vcc
	v_add_co_u32_e32 v0, vcc, v0, v2
	s_mul_i32 s2, s13, 0x190
	s_mul_hi_u32 s3, s12, 0x190
	v_addc_co_u32_e32 v1, vcc, v1, v3, vcc
	s_add_i32 s3, s3, s2
	s_mul_i32 s2, s12, 0x190
	v_mov_b32_e32 v3, s3
	v_add_co_u32_e32 v2, vcc, s2, v0
	v_addc_co_u32_e32 v3, vcc, v1, v3, vcc
	v_mov_b32_e32 v5, s3
	v_add_co_u32_e32 v4, vcc, s2, v2
	v_addc_co_u32_e32 v5, vcc, v3, v5, vcc
	;; [unrolled: 3-line block ×3, first 2 shown]
	global_load_dwordx2 v[6:7], v59, s[8:9]
	global_load_dwordx2 v[8:9], v59, s[8:9] offset:400
	global_load_dwordx2 v[10:11], v59, s[8:9] offset:800
	;; [unrolled: 1-line block ×3, first 2 shown]
	v_mov_b32_e32 v24, s3
	global_load_dwordx2 v[16:17], v[0:1], off
	global_load_dwordx2 v[18:19], v[2:3], off
	global_load_dwordx2 v[20:21], v[4:5], off
	global_load_dwordx2 v[22:23], v[14:15], off
	v_add_co_u32_e32 v0, vcc, s2, v14
	v_addc_co_u32_e32 v1, vcc, v15, v24, vcc
	v_mov_b32_e32 v25, s3
	global_load_dwordx2 v[2:3], v[0:1], off
	v_add_co_u32_e32 v0, vcc, s2, v0
	v_addc_co_u32_e32 v1, vcc, v1, v25, vcc
	global_load_dwordx2 v[4:5], v[0:1], off
	global_load_dwordx2 v[14:15], v59, s[8:9] offset:1600
	global_load_dwordx2 v[24:25], v59, s[8:9] offset:2000
	;; [unrolled: 1-line block ×4, first 2 shown]
	v_mov_b32_e32 v30, s3
	v_add_co_u32_e32 v0, vcc, s2, v0
	v_addc_co_u32_e32 v1, vcc, v1, v30, vcc
	v_mov_b32_e32 v32, s3
	global_load_dwordx2 v[30:31], v[0:1], off
	v_add_co_u32_e32 v0, vcc, s2, v0
	v_addc_co_u32_e32 v1, vcc, v1, v32, vcc
	v_mov_b32_e32 v33, s3
	v_add_co_u32_e32 v32, vcc, s2, v0
	v_addc_co_u32_e32 v33, vcc, v1, v33, vcc
	global_load_dwordx2 v[34:35], v[0:1], off
	global_load_dwordx2 v[36:37], v[32:33], off
	v_mov_b32_e32 v1, s3
	v_add_co_u32_e32 v0, vcc, s2, v32
	v_addc_co_u32_e32 v1, vcc, v33, v1, vcc
	global_load_dwordx2 v[32:33], v[0:1], off
	v_mov_b32_e32 v38, s3
	v_add_co_u32_e32 v0, vcc, s2, v0
	v_addc_co_u32_e32 v1, vcc, v1, v38, vcc
	v_add_co_u32_e32 v48, vcc, s8, v59
	v_addc_co_u32_e32 v49, vcc, 0, v46, vcc
	global_load_dwordx2 v[38:39], v[0:1], off
	global_load_dwordx2 v[40:41], v59, s[8:9] offset:3200
	global_load_dwordx2 v[42:43], v59, s[8:9] offset:3600
	;; [unrolled: 1-line block ×3, first 2 shown]
	v_mov_b32_e32 v46, s3
	v_add_co_u32_e32 v0, vcc, s2, v0
	v_addc_co_u32_e32 v1, vcc, v1, v46, vcc
	s_movk_i32 s12, 0x1000
	v_add_co_u32_e32 v48, vcc, s12, v48
	v_addc_co_u32_e32 v49, vcc, 0, v49, vcc
	global_load_dwordx2 v[46:47], v[0:1], off
	v_mov_b32_e32 v52, s3
	v_add_co_u32_e32 v0, vcc, s2, v0
	v_addc_co_u32_e32 v1, vcc, v1, v52, vcc
	global_load_dwordx2 v[52:53], v[0:1], off
	v_mov_b32_e32 v54, s3
	v_add_co_u32_e32 v0, vcc, s2, v0
	global_load_dwordx2 v[50:51], v[48:49], off offset:304
	v_addc_co_u32_e32 v1, vcc, v1, v54, vcc
	global_load_dwordx2 v[54:55], v[0:1], off
	global_load_dwordx2 v[57:58], v[48:49], off offset:704
	global_load_dwordx2 v[61:62], v[48:49], off offset:1104
	v_mov_b32_e32 v63, s3
	v_add_co_u32_e32 v0, vcc, s2, v0
	v_addc_co_u32_e32 v1, vcc, v1, v63, vcc
	global_load_dwordx2 v[63:64], v[0:1], off
	v_mov_b32_e32 v67, s3
	v_add_co_u32_e32 v0, vcc, s2, v0
	v_addc_co_u32_e32 v1, vcc, v1, v67, vcc
	global_load_dwordx2 v[65:66], v[48:49], off offset:1504
	global_load_dwordx2 v[67:68], v[0:1], off
	global_load_dwordx2 v[69:70], v[48:49], off offset:1904
	s_waitcnt vmcnt(27)
	v_mul_f32_e32 v0, v16, v7
	v_fma_f32 v1, v17, v6, -v0
	v_mul_f32_e32 v0, v17, v7
	v_fmac_f32_e32 v0, v16, v6
	s_waitcnt vmcnt(26)
	v_mul_f32_e32 v6, v18, v9
	v_fma_f32 v7, v19, v8, -v6
	v_mul_f32_e32 v6, v19, v9
	v_fmac_f32_e32 v6, v18, v8
	ds_write2_b64 v59, v[0:1], v[6:7] offset1:50
	s_waitcnt vmcnt(25)
	v_mul_f32_e32 v0, v20, v11
	s_waitcnt vmcnt(24)
	v_mul_f32_e32 v6, v22, v13
	v_fma_f32 v1, v21, v10, -v0
	v_mul_f32_e32 v0, v21, v11
	v_fma_f32 v7, v23, v12, -v6
	v_mul_f32_e32 v6, v23, v13
	v_fmac_f32_e32 v0, v20, v10
	v_fmac_f32_e32 v6, v22, v12
	ds_write2_b64 v59, v[0:1], v[6:7] offset0:100 offset1:150
	s_waitcnt vmcnt(21)
	v_mul_f32_e32 v0, v2, v15
	v_mul_f32_e32 v8, v3, v15
	v_fma_f32 v9, v3, v14, -v0
	s_waitcnt vmcnt(20)
	v_mul_f32_e32 v0, v5, v25
	v_mul_f32_e32 v1, v4, v25
	v_fmac_f32_e32 v8, v2, v14
	v_fmac_f32_e32 v0, v4, v24
	v_fma_f32 v1, v5, v24, -v1
	ds_write2_b64 v59, v[8:9], v[0:1] offset0:200 offset1:250
	s_waitcnt vmcnt(17)
	v_mul_f32_e32 v0, v30, v27
	s_waitcnt vmcnt(16)
	v_mul_f32_e32 v2, v34, v29
	v_fma_f32 v1, v31, v26, -v0
	v_mul_f32_e32 v0, v31, v27
	v_fma_f32 v3, v35, v28, -v2
	v_mul_f32_e32 v2, v35, v29
	v_fmac_f32_e32 v0, v30, v26
	v_fmac_f32_e32 v2, v34, v28
	v_add_u32_e32 v4, 0x800, v59
	ds_write2_b64 v4, v[0:1], v[2:3] offset0:44 offset1:94
	s_waitcnt vmcnt(12)
	v_mul_f32_e32 v0, v37, v41
	v_mul_f32_e32 v1, v36, v41
	s_waitcnt vmcnt(11)
	v_mul_f32_e32 v2, v33, v43
	v_mul_f32_e32 v3, v32, v43
	v_fmac_f32_e32 v0, v36, v40
	v_fma_f32 v1, v37, v40, -v1
	v_fmac_f32_e32 v2, v32, v42
	v_fma_f32 v3, v33, v42, -v3
	ds_write2_b64 v4, v[0:1], v[2:3] offset0:144 offset1:194
	s_waitcnt vmcnt(10)
	v_mul_f32_e32 v0, v39, v45
	v_mul_f32_e32 v1, v38, v45
	v_fmac_f32_e32 v0, v38, v44
	v_fma_f32 v1, v39, v44, -v1
	v_add_u32_e32 v4, 0xc00, v59
	s_waitcnt vmcnt(7)
	v_mul_f32_e32 v2, v46, v51
	v_fma_f32 v3, v47, v50, -v2
	v_mul_f32_e32 v2, v47, v51
	v_fmac_f32_e32 v2, v46, v50
	ds_write2_b64 v4, v[0:1], v[2:3] offset0:116 offset1:166
	s_waitcnt vmcnt(5)
	v_mul_f32_e32 v0, v53, v58
	v_mul_f32_e32 v1, v52, v58
	s_waitcnt vmcnt(4)
	v_mul_f32_e32 v2, v55, v62
	v_mul_f32_e32 v3, v54, v62
	v_fmac_f32_e32 v0, v52, v57
	v_fma_f32 v1, v53, v57, -v1
	v_fmac_f32_e32 v2, v54, v61
	v_fma_f32 v3, v55, v61, -v3
	v_add_u32_e32 v4, 0x1000, v59
	ds_write2_b64 v4, v[0:1], v[2:3] offset0:88 offset1:138
	s_waitcnt vmcnt(2)
	v_mul_f32_e32 v0, v64, v66
	v_mul_f32_e32 v1, v63, v66
	s_waitcnt vmcnt(0)
	v_mul_f32_e32 v2, v68, v70
	v_mul_f32_e32 v3, v67, v70
	v_fmac_f32_e32 v0, v63, v65
	v_fma_f32 v1, v64, v65, -v1
	v_fmac_f32_e32 v2, v67, v69
	v_fma_f32 v3, v68, v69, -v3
	ds_write2_b64 v4, v[0:1], v[2:3] offset0:188 offset1:238
.LBB0_3:
	s_or_b64 exec, exec, s[6:7]
	s_load_dwordx2 s[2:3], s[4:5], 0x20
	s_load_dwordx2 s[12:13], s[4:5], 0x8
	s_waitcnt lgkmcnt(0)
	s_barrier
	s_waitcnt lgkmcnt(0)
                                        ; implicit-def: $vgpr14
                                        ; implicit-def: $vgpr26
                                        ; implicit-def: $vgpr18
                                        ; implicit-def: $vgpr22
                                        ; implicit-def: $vgpr2
                                        ; implicit-def: $vgpr30
                                        ; implicit-def: $vgpr6
                                        ; implicit-def: $vgpr10
	s_and_saveexec_b64 s[4:5], s[0:1]
	s_cbranch_execz .LBB0_5
; %bb.4:
	v_add_u32_e32 v12, 0x800, v59
	ds_read2_b64 v[8:11], v59 offset1:50
	ds_read2_b64 v[4:7], v59 offset0:100 offset1:150
	ds_read2_b64 v[0:3], v12 offset0:44 offset1:94
	;; [unrolled: 1-line block ×3, first 2 shown]
	v_add_u32_e32 v12, 0xc00, v59
	ds_read2_b64 v[16:19], v12 offset0:116 offset1:166
	v_add_u32_e32 v12, 0x1000, v59
	ds_read2_b64 v[24:27], v12 offset0:88 offset1:138
	ds_read2_b64 v[12:15], v12 offset0:188 offset1:238
	;; [unrolled: 1-line block ×3, first 2 shown]
.LBB0_5:
	s_or_b64 exec, exec, s[4:5]
	s_waitcnt lgkmcnt(4)
	v_sub_f32_e32 v20, v8, v20
	v_sub_f32_e32 v21, v9, v21
	s_waitcnt lgkmcnt(0)
	v_sub_f32_e32 v24, v28, v24
	v_sub_f32_e32 v25, v29, v25
	;; [unrolled: 1-line block ×7, first 2 shown]
	v_add_f32_e32 v33, v24, v21
	v_fma_f32 v8, v8, 2.0, -v20
	v_fma_f32 v9, v9, 2.0, -v21
	;; [unrolled: 1-line block ×6, first 2 shown]
	v_sub_f32_e32 v13, v16, v13
	v_add_f32_e32 v12, v12, v17
	v_fma_f32 v4, v4, 2.0, -v16
	v_fma_f32 v5, v5, 2.0, -v17
	;; [unrolled: 1-line block ×4, first 2 shown]
	v_mov_b32_e32 v34, v20
	v_mov_b32_e32 v35, v21
	v_fmac_f32_e32 v34, 0xbf3504f3, v16
	v_fmac_f32_e32 v35, 0xbf3504f3, v17
	;; [unrolled: 1-line block ×4, first 2 shown]
	v_mov_b32_e32 v16, v32
	v_mov_b32_e32 v17, v33
	v_sub_f32_e32 v22, v10, v22
	v_sub_f32_e32 v23, v11, v23
	;; [unrolled: 1-line block ×4, first 2 shown]
	v_fmac_f32_e32 v16, 0x3f3504f3, v13
	v_fmac_f32_e32 v17, 0x3f3504f3, v12
	v_sub_f32_e32 v18, v6, v18
	v_sub_f32_e32 v19, v7, v19
	;; [unrolled: 1-line block ×4, first 2 shown]
	v_fmac_f32_e32 v16, 0xbf3504f3, v12
	v_fmac_f32_e32 v17, 0x3f3504f3, v13
	v_sub_f32_e32 v12, v22, v27
	v_add_f32_e32 v13, v26, v23
	v_fma_f32 v10, v10, 2.0, -v22
	v_fma_f32 v11, v11, 2.0, -v23
	;; [unrolled: 1-line block ×6, first 2 shown]
	v_sub_f32_e32 v15, v18, v15
	v_add_f32_e32 v14, v14, v19
	v_fma_f32 v6, v6, 2.0, -v18
	v_fma_f32 v7, v7, 2.0, -v19
	;; [unrolled: 1-line block ×4, first 2 shown]
	v_mov_b32_e32 v40, v22
	v_mov_b32_e32 v41, v23
	v_fmac_f32_e32 v40, 0xbf3504f3, v18
	v_fmac_f32_e32 v41, 0xbf3504f3, v19
	v_fma_f32 v30, v30, 2.0, -v26
	v_fma_f32 v31, v31, 2.0, -v27
	v_fmac_f32_e32 v40, 0xbf3504f3, v19
	v_fmac_f32_e32 v41, 0x3f3504f3, v18
	v_mov_b32_e32 v18, v12
	v_mov_b32_e32 v19, v13
	v_fma_f32 v28, v28, 2.0, -v24
	v_fma_f32 v29, v29, 2.0, -v25
	v_fmac_f32_e32 v18, 0x3f3504f3, v15
	v_fmac_f32_e32 v19, 0x3f3504f3, v14
	v_sub_f32_e32 v24, v4, v0
	v_sub_f32_e32 v25, v5, v1
	;; [unrolled: 1-line block ×4, first 2 shown]
	v_fmac_f32_e32 v18, 0xbf3504f3, v14
	v_fmac_f32_e32 v19, 0x3f3504f3, v15
	v_sub_f32_e32 v14, v8, v28
	v_sub_f32_e32 v15, v9, v29
	v_fma_f32 v0, v4, 2.0, -v24
	v_fma_f32 v1, v5, 2.0, -v25
	;; [unrolled: 1-line block ×4, first 2 shown]
	v_sub_f32_e32 v10, v6, v2
	v_sub_f32_e32 v11, v7, v3
	v_fma_f32 v8, v8, 2.0, -v14
	v_fma_f32 v9, v9, 2.0, -v15
	;; [unrolled: 1-line block ×4, first 2 shown]
	v_sub_f32_e32 v2, v8, v0
	v_sub_f32_e32 v3, v9, v1
	;; [unrolled: 1-line block ×4, first 2 shown]
	v_fma_f32 v0, v8, 2.0, -v2
	v_fma_f32 v1, v9, 2.0, -v3
	;; [unrolled: 1-line block ×4, first 2 shown]
	v_sub_f32_e32 v36, v0, v4
	v_sub_f32_e32 v37, v1, v5
	v_fma_f32 v4, v20, 2.0, -v34
	v_fma_f32 v5, v21, 2.0, -v35
	;; [unrolled: 1-line block ×4, first 2 shown]
	v_mov_b32_e32 v38, v4
	v_mov_b32_e32 v39, v5
	v_fmac_f32_e32 v38, 0xbf6c835e, v6
	v_fmac_f32_e32 v39, 0xbf6c835e, v7
	v_sub_f32_e32 v20, v14, v25
	v_add_f32_e32 v21, v24, v15
	v_fmac_f32_e32 v38, 0xbec3ef15, v7
	v_fmac_f32_e32 v39, 0x3ec3ef15, v6
	v_fma_f32 v6, v14, 2.0, -v20
	v_fma_f32 v7, v15, 2.0, -v21
	v_sub_f32_e32 v11, v26, v11
	v_add_f32_e32 v10, v10, v27
	v_mov_b32_e32 v30, v34
	v_mov_b32_e32 v31, v35
	v_fma_f32 v8, v26, 2.0, -v11
	v_fma_f32 v9, v27, 2.0, -v10
	v_mov_b32_e32 v24, v6
	v_mov_b32_e32 v25, v7
	v_fmac_f32_e32 v30, 0x3ec3ef15, v40
	v_fmac_f32_e32 v31, 0x3ec3ef15, v41
	;; [unrolled: 1-line block ×8, first 2 shown]
	v_fma_f32 v8, v32, 2.0, -v16
	v_fma_f32 v9, v33, 2.0, -v17
	;; [unrolled: 1-line block ×4, first 2 shown]
	v_mov_b32_e32 v32, v20
	v_mov_b32_e32 v33, v21
	;; [unrolled: 1-line block ×4, first 2 shown]
	v_fma_f32 v12, v12, 2.0, -v18
	v_fma_f32 v13, v13, 2.0, -v19
	v_mov_b32_e32 v26, v8
	v_mov_b32_e32 v27, v9
	v_fmac_f32_e32 v32, 0x3f3504f3, v11
	v_fmac_f32_e32 v33, 0x3f3504f3, v10
	;; [unrolled: 1-line block ×12, first 2 shown]
	v_sub_f32_e32 v28, v2, v28
	v_add_f32_e32 v29, v29, v3
	v_fma_f32 v44, v20, 2.0, -v32
	v_fma_f32 v45, v21, 2.0, -v33
	;; [unrolled: 1-line block ×4, first 2 shown]
	v_lshlrev_b16_e32 v61, 4, v60
	s_barrier
	s_and_saveexec_b64 s[4:5], s[0:1]
	s_cbranch_execz .LBB0_7
; %bb.6:
	v_fma_f32 v41, v3, 2.0, -v29
	v_fma_f32 v40, v2, 2.0, -v28
	;; [unrolled: 1-line block ×6, first 2 shown]
	v_lshlrev_b32_e32 v4, 3, v61
	v_fma_f32 v9, v9, 2.0, -v27
	v_fma_f32 v8, v8, 2.0, -v26
	;; [unrolled: 1-line block ×4, first 2 shown]
	ds_write_b128 v4, v[0:3]
	ds_write_b128 v4, v[6:9] offset:16
	ds_write_b128 v4, v[40:43] offset:32
	;; [unrolled: 1-line block ×7, first 2 shown]
.LBB0_7:
	s_or_b64 exec, exec, s[4:5]
	v_and_b32_e32 v19, 15, v60
	v_lshlrev_b32_e32 v8, 5, v19
	s_load_dwordx4 s[4:7], s[2:3], 0x0
	s_waitcnt lgkmcnt(0)
	s_barrier
	global_load_dwordx4 v[4:7], v8, s[12:13]
	global_load_dwordx4 v[0:3], v8, s[12:13] offset:16
	v_add_u32_e32 v8, 0x800, v59
	ds_read2_b64 v[9:12], v59 offset1:160
	ds_read_b64 v[17:18], v59 offset:5120
	ds_read2_b64 v[13:16], v8 offset0:64 offset1:224
	s_movk_i32 s2, 0x50
	s_mov_b32 s18, 0x3f737871
	s_mov_b32 s19, 0x3f167918
	;; [unrolled: 1-line block ×4, first 2 shown]
	v_cmp_gt_u16_e64 s[2:3], s2, v60
	s_waitcnt vmcnt(0) lgkmcnt(0)
	s_barrier
	v_mul_f32_e32 v20, v12, v5
	v_mul_f32_e32 v21, v11, v5
	;; [unrolled: 1-line block ×8, first 2 shown]
	v_fma_f32 v11, v11, v4, -v20
	v_fmac_f32_e32 v21, v12, v4
	v_fma_f32 v12, v13, v6, -v22
	v_fmac_f32_e32 v23, v14, v6
	v_fma_f32 v13, v15, v0, -v40
	v_fma_f32 v14, v17, v2, -v41
	v_fmac_f32_e32 v48, v16, v0
	v_fmac_f32_e32 v53, v18, v2
	v_add_f32_e32 v15, v9, v11
	v_add_f32_e32 v16, v12, v13
	;; [unrolled: 1-line block ×6, first 2 shown]
	v_fma_f32 v40, -0.5, v16, v9
	v_fma_f32 v50, -0.5, v20, v9
	v_add_f32_e32 v9, v15, v12
	v_sub_f32_e32 v52, v11, v12
	v_sub_f32_e32 v55, v14, v13
	v_fma_f32 v41, -0.5, v22, v10
	v_fma_f32 v51, -0.5, v49, v10
	v_add_f32_e32 v15, v54, v23
	v_add_f32_e32 v9, v9, v13
	v_sub_f32_e32 v17, v21, v53
	v_sub_f32_e32 v18, v23, v48
	;; [unrolled: 1-line block ×8, first 2 shown]
	v_add_f32_e32 v10, v52, v55
	v_add_f32_e32 v13, v15, v48
	v_mov_b32_e32 v54, v40
	v_mov_b32_e32 v48, v50
	;; [unrolled: 1-line block ×4, first 2 shown]
	v_add_f32_e32 v52, v9, v14
	v_lshrrev_b32_e32 v9, 4, v60
	v_sub_f32_e32 v63, v21, v23
	v_sub_f32_e32 v21, v23, v21
	v_fmac_f32_e32 v40, 0xbf737871, v17
	v_fmac_f32_e32 v50, 0x3f737871, v18
	;; [unrolled: 1-line block ×8, first 2 shown]
	v_mul_u32_u24_e32 v9, 0x50, v9
	v_add_f32_e32 v12, v57, v58
	v_add_f32_e32 v16, v63, v64
	;; [unrolled: 1-line block ×3, first 2 shown]
	v_fmac_f32_e32 v40, 0xbf167918, v18
	v_fmac_f32_e32 v50, 0xbf167918, v17
	;; [unrolled: 1-line block ×8, first 2 shown]
	v_or_b32_e32 v9, v9, v19
	v_add_f32_e32 v53, v13, v53
	v_fmac_f32_e32 v40, 0x3e9e377a, v10
	v_fmac_f32_e32 v50, 0x3e9e377a, v12
	;; [unrolled: 1-line block ×8, first 2 shown]
	v_lshlrev_b32_e32 v62, 3, v9
	ds_write2_b64 v62, v[52:53], v[54:55] offset1:16
	ds_write2_b64 v62, v[48:49], v[50:51] offset0:32 offset1:48
	ds_write_b64 v62, v[40:41] offset:512
	s_waitcnt lgkmcnt(0)
	s_barrier
	s_and_saveexec_b64 s[14:15], s[2:3]
	s_cbranch_execz .LBB0_9
; %bb.8:
	ds_read2_b64 v[52:55], v59 offset1:80
	ds_read2_b64 v[48:51], v59 offset0:160 offset1:240
	ds_read2_b64 v[40:43], v8 offset0:64 offset1:144
	v_add_u32_e32 v8, 0xc00, v59
	ds_read2_b64 v[44:47], v8 offset0:96 offset1:176
	v_add_u32_e32 v8, 0x1000, v59
	ds_read2_b64 v[36:39], v8 offset0:128 offset1:208
.LBB0_9:
	s_or_b64 exec, exec, s[14:15]
	v_add_u32_e32 v8, 0xffffffb0, v60
	v_cndmask_b32_e64 v8, v8, v60, s[2:3]
	v_mul_hi_i32_i24_e32 v9, 0x48, v8
	v_mul_i32_i24_e32 v8, 0x48, v8
	v_mov_b32_e32 v10, s13
	v_add_co_u32_e32 v63, vcc, s12, v8
	v_addc_co_u32_e32 v64, vcc, v10, v9, vcc
	global_load_dwordx4 v[8:11], v[63:64], off offset:512
	global_load_dwordx4 v[20:23], v[63:64], off offset:528
	;; [unrolled: 1-line block ×4, first 2 shown]
	global_load_dwordx2 v[57:58], v[63:64], off offset:576
	s_waitcnt vmcnt(4) lgkmcnt(3)
	v_mul_f32_e32 v65, v49, v11
	s_waitcnt vmcnt(3) lgkmcnt(2)
	v_mul_f32_e32 v69, v41, v23
	v_mul_f32_e32 v70, v40, v23
	s_waitcnt vmcnt(2)
	v_mul_f32_e32 v71, v43, v17
	s_waitcnt lgkmcnt(1)
	v_mul_f32_e32 v73, v45, v19
	v_mul_f32_e32 v74, v44, v19
	s_waitcnt vmcnt(1) lgkmcnt(0)
	v_mul_f32_e32 v77, v37, v15
	v_mul_f32_e32 v63, v55, v9
	;; [unrolled: 1-line block ×9, first 2 shown]
	s_waitcnt vmcnt(0)
	v_mul_f32_e32 v79, v39, v58
	v_mul_f32_e32 v80, v38, v58
	v_fma_f32 v48, v48, v10, -v65
	v_fma_f32 v40, v40, v22, -v69
	v_fmac_f32_e32 v70, v41, v22
	v_fma_f32 v41, v42, v16, -v71
	v_fma_f32 v42, v44, v18, -v73
	v_fmac_f32_e32 v74, v45, v18
	v_fma_f32 v36, v36, v14, -v77
	v_mul_f32_e32 v68, v50, v21
	v_fmac_f32_e32 v66, v49, v10
	v_fma_f32 v49, v50, v20, -v67
	v_fma_f32 v50, v54, v8, -v63
	v_fmac_f32_e32 v64, v55, v8
	v_fmac_f32_e32 v72, v43, v16
	v_fma_f32 v43, v46, v12, -v75
	v_fmac_f32_e32 v76, v47, v12
	v_fmac_f32_e32 v78, v37, v14
	v_fma_f32 v37, v38, v57, -v79
	v_fmac_f32_e32 v80, v39, v57
	v_add_f32_e32 v38, v52, v48
	v_add_f32_e32 v39, v40, v42
	v_sub_f32_e32 v46, v48, v40
	v_sub_f32_e32 v47, v36, v42
	;; [unrolled: 1-line block ×4, first 2 shown]
	v_add_f32_e32 v65, v70, v74
	v_add_f32_e32 v63, v53, v66
	v_sub_f32_e32 v67, v40, v42
	v_add_f32_e32 v38, v38, v40
	v_add_f32_e32 v40, v46, v47
	v_fma_f32 v47, -0.5, v39, v52
	v_add_f32_e32 v39, v54, v55
	v_fma_f32 v55, -0.5, v65, v53
	v_fmac_f32_e32 v68, v51, v20
	v_add_f32_e32 v51, v48, v36
	v_sub_f32_e32 v48, v48, v36
	v_add_f32_e32 v46, v63, v70
	v_mov_b32_e32 v63, v55
	v_sub_f32_e32 v69, v66, v70
	v_sub_f32_e32 v71, v78, v74
	v_add_f32_e32 v38, v38, v42
	v_fmac_f32_e32 v63, 0xbf737871, v48
	v_fmac_f32_e32 v55, 0x3f737871, v48
	v_add_f32_e32 v42, v46, v74
	v_add_f32_e32 v46, v38, v36
	v_fmac_f32_e32 v63, 0xbf167918, v67
	v_add_f32_e32 v36, v69, v71
	v_fmac_f32_e32 v55, 0x3f167918, v67
	v_fmac_f32_e32 v63, 0x3e9e377a, v36
	;; [unrolled: 1-line block ×3, first 2 shown]
	v_add_f32_e32 v36, v66, v78
	v_fmac_f32_e32 v53, -0.5, v36
	v_mov_b32_e32 v69, v53
	v_fmac_f32_e32 v69, 0x3f737871, v67
	v_sub_f32_e32 v36, v70, v66
	v_sub_f32_e32 v38, v74, v78
	v_fmac_f32_e32 v53, 0xbf737871, v67
	v_fmac_f32_e32 v69, 0xbf167918, v48
	v_add_f32_e32 v36, v36, v38
	v_fmac_f32_e32 v53, 0x3f167918, v48
	v_fmac_f32_e32 v52, -0.5, v51
	v_fmac_f32_e32 v69, 0x3e9e377a, v36
	v_fmac_f32_e32 v53, 0x3e9e377a, v36
	v_add_f32_e32 v36, v50, v49
	v_sub_f32_e32 v45, v70, v74
	v_mov_b32_e32 v54, v52
	v_add_f32_e32 v36, v36, v41
	v_sub_f32_e32 v44, v66, v78
	v_fmac_f32_e32 v52, 0x3f737871, v45
	v_fmac_f32_e32 v54, 0xbf737871, v45
	v_add_f32_e32 v36, v36, v43
	v_mov_b32_e32 v51, v47
	v_fmac_f32_e32 v52, 0xbf167918, v44
	v_fmac_f32_e32 v54, 0x3f167918, v44
	v_add_f32_e32 v48, v36, v37
	v_add_f32_e32 v36, v41, v43
	v_fmac_f32_e32 v47, 0xbf737871, v44
	v_fmac_f32_e32 v51, 0x3f737871, v44
	;; [unrolled: 1-line block ×4, first 2 shown]
	v_fma_f32 v39, -0.5, v36, v50
	v_fmac_f32_e32 v47, 0xbf167918, v45
	v_fmac_f32_e32 v51, 0x3f167918, v45
	v_sub_f32_e32 v36, v68, v80
	v_mov_b32_e32 v44, v39
	v_add_f32_e32 v65, v42, v78
	v_fmac_f32_e32 v47, 0x3e9e377a, v40
	v_fmac_f32_e32 v51, 0x3e9e377a, v40
	;; [unrolled: 1-line block ×3, first 2 shown]
	v_sub_f32_e32 v38, v72, v76
	v_sub_f32_e32 v40, v49, v41
	;; [unrolled: 1-line block ×3, first 2 shown]
	v_fmac_f32_e32 v39, 0xbf737871, v36
	v_fmac_f32_e32 v44, 0x3f167918, v38
	v_add_f32_e32 v40, v40, v42
	v_fmac_f32_e32 v39, 0xbf167918, v38
	v_fmac_f32_e32 v44, 0x3e9e377a, v40
	;; [unrolled: 1-line block ×3, first 2 shown]
	v_add_f32_e32 v40, v49, v37
	v_fmac_f32_e32 v50, -0.5, v40
	v_mov_b32_e32 v45, v50
	v_fmac_f32_e32 v45, 0xbf737871, v38
	v_fmac_f32_e32 v50, 0x3f737871, v38
	;; [unrolled: 1-line block ×4, first 2 shown]
	v_add_f32_e32 v36, v64, v68
	v_add_f32_e32 v36, v36, v72
	;; [unrolled: 1-line block ×5, first 2 shown]
	v_sub_f32_e32 v40, v41, v49
	v_sub_f32_e32 v42, v43, v37
	v_fma_f32 v67, -0.5, v36, v64
	v_add_f32_e32 v40, v40, v42
	v_sub_f32_e32 v36, v49, v37
	v_mov_b32_e32 v37, v67
	v_fmac_f32_e32 v45, 0x3e9e377a, v40
	v_fmac_f32_e32 v50, 0x3e9e377a, v40
	;; [unrolled: 1-line block ×3, first 2 shown]
	v_sub_f32_e32 v38, v41, v43
	v_sub_f32_e32 v40, v68, v72
	;; [unrolled: 1-line block ×3, first 2 shown]
	v_fmac_f32_e32 v67, 0x3f737871, v36
	v_fmac_f32_e32 v37, 0xbf167918, v38
	v_add_f32_e32 v40, v40, v41
	v_fmac_f32_e32 v67, 0x3f167918, v38
	v_fmac_f32_e32 v37, 0x3e9e377a, v40
	;; [unrolled: 1-line block ×3, first 2 shown]
	v_add_f32_e32 v40, v68, v80
	v_fmac_f32_e32 v64, -0.5, v40
	v_mov_b32_e32 v41, v64
	v_sub_f32_e32 v40, v72, v68
	v_sub_f32_e32 v42, v76, v80
	v_fmac_f32_e32 v64, 0xbf737871, v38
	v_fmac_f32_e32 v41, 0x3f737871, v38
	v_add_f32_e32 v40, v40, v42
	v_fmac_f32_e32 v64, 0x3f167918, v36
	v_fmac_f32_e32 v41, 0xbf167918, v36
	v_fmac_f32_e32 v64, 0x3e9e377a, v40
	v_mul_f32_e32 v72, 0xbf167918, v44
	v_fmac_f32_e32 v41, 0x3e9e377a, v40
	v_mul_f32_e32 v49, 0x3f167918, v37
	v_mul_f32_e32 v42, 0x3e9e377a, v50
	v_fmac_f32_e32 v72, 0x3f4f1bbd, v37
	v_mul_f32_e32 v37, 0x3e9e377a, v64
	v_mul_f32_e32 v68, 0x3f737871, v41
	v_fma_f32 v70, v64, s18, -v42
	v_mul_f32_e32 v43, 0x3f4f1bbd, v39
	v_mul_f32_e32 v73, 0xbf737871, v45
	v_fma_f32 v64, v50, s16, -v37
	v_mul_f32_e32 v37, 0x3f4f1bbd, v67
	v_fmac_f32_e32 v49, 0x3f4f1bbd, v44
	v_fmac_f32_e32 v68, 0x3e9e377a, v45
	v_fma_f32 v71, v67, s19, -v43
	v_fmac_f32_e32 v73, 0x3e9e377a, v41
	v_fma_f32 v67, v39, s17, -v37
	v_add_f32_e32 v36, v46, v48
	v_add_f32_e32 v38, v51, v49
	;; [unrolled: 1-line block ×10, first 2 shown]
	v_sub_f32_e32 v46, v46, v48
	v_sub_f32_e32 v48, v51, v49
	;; [unrolled: 1-line block ×10, first 2 shown]
	s_and_saveexec_b64 s[12:13], s[2:3]
	s_cbranch_execz .LBB0_11
; %bb.10:
	v_add_u32_e32 v63, 0x800, v59
	ds_write2_b64 v59, v[36:37], v[38:39] offset1:80
	ds_write2_b64 v59, v[40:41], v[42:43] offset0:160 offset1:240
	ds_write2_b64 v63, v[44:45], v[46:47] offset0:64 offset1:144
	v_add_u32_e32 v63, 0xc00, v59
	ds_write2_b64 v63, v[48:49], v[50:51] offset0:96 offset1:176
	v_add_u32_e32 v63, 0x1000, v59
	ds_write2_b64 v63, v[52:53], v[54:55] offset0:128 offset1:208
.LBB0_11:
	s_or_b64 exec, exec, s[12:13]
	s_waitcnt lgkmcnt(0)
	s_barrier
	s_and_saveexec_b64 s[12:13], s[0:1]
	s_cbranch_execz .LBB0_13
; %bb.12:
	v_add_co_u32_e32 v73, vcc, s8, v59
	v_mov_b32_e32 v63, s9
	v_addc_co_u32_e32 v74, vcc, 0, v63, vcc
	v_add_co_u32_e32 v67, vcc, 0x1900, v73
	v_addc_co_u32_e32 v68, vcc, 0, v74, vcc
	v_add_co_u32_e32 v65, vcc, 0x1000, v73
	v_addc_co_u32_e32 v66, vcc, 0, v74, vcc
	global_load_dwordx2 v[65:66], v[65:66], off offset:2304
	ds_read_b64 v[63:64], v59
	v_add_u32_e32 v75, 0x400, v59
	s_movk_i32 s14, 0x2000
	s_waitcnt vmcnt(0) lgkmcnt(0)
	v_mul_f32_e32 v69, v64, v66
	v_mul_f32_e32 v70, v63, v66
	v_fma_f32 v69, v63, v65, -v69
	v_fmac_f32_e32 v70, v64, v65
	ds_write_b64 v59, v[69:70]
	global_load_dwordx2 v[69:70], v[67:68], off offset:400
	ds_read2_b64 v[63:66], v59 offset0:50 offset1:100
	s_waitcnt vmcnt(0) lgkmcnt(0)
	v_mul_f32_e32 v71, v64, v70
	v_mul_f32_e32 v72, v63, v70
	v_fma_f32 v71, v63, v69, -v71
	v_fmac_f32_e32 v72, v64, v69
	global_load_dwordx2 v[63:64], v[67:68], off offset:800
	s_waitcnt vmcnt(0)
	v_mul_f32_e32 v69, v66, v64
	v_mul_f32_e32 v70, v65, v64
	v_fma_f32 v69, v65, v63, -v69
	v_fmac_f32_e32 v70, v66, v63
	ds_write2_b64 v59, v[71:72], v[69:70] offset0:50 offset1:100
	global_load_dwordx2 v[69:70], v[67:68], off offset:1200
	ds_read2_b64 v[63:66], v59 offset0:150 offset1:200
	s_waitcnt vmcnt(0) lgkmcnt(0)
	v_mul_f32_e32 v71, v64, v70
	v_mul_f32_e32 v72, v63, v70
	v_fma_f32 v71, v63, v69, -v71
	v_fmac_f32_e32 v72, v64, v69
	global_load_dwordx2 v[63:64], v[67:68], off offset:1600
	s_waitcnt vmcnt(0)
	v_mul_f32_e32 v69, v66, v64
	v_mul_f32_e32 v70, v65, v64
	v_fma_f32 v69, v65, v63, -v69
	v_fmac_f32_e32 v70, v66, v63
	ds_write2_b64 v59, v[71:72], v[69:70] offset0:150 offset1:200
	;; [unrolled: 14-line block ×3, first 2 shown]
	global_load_dwordx2 v[69:70], v[67:68], off offset:2800
	v_add_u32_e32 v75, 0x800, v59
	ds_read2_b64 v[63:66], v75 offset0:94 offset1:144
	s_waitcnt vmcnt(0) lgkmcnt(0)
	v_mul_f32_e32 v71, v64, v70
	v_mul_f32_e32 v72, v63, v70
	v_fma_f32 v71, v63, v69, -v71
	v_fmac_f32_e32 v72, v64, v69
	global_load_dwordx2 v[63:64], v[67:68], off offset:3200
	s_waitcnt vmcnt(0)
	v_mul_f32_e32 v69, v66, v64
	v_mul_f32_e32 v70, v65, v64
	v_fma_f32 v69, v65, v63, -v69
	v_fmac_f32_e32 v70, v66, v63
	ds_write2_b64 v75, v[71:72], v[69:70] offset0:94 offset1:144
	global_load_dwordx2 v[69:70], v[67:68], off offset:3600
	ds_read2_b64 v[63:66], v75 offset0:194 offset1:244
	s_waitcnt vmcnt(0) lgkmcnt(0)
	v_mul_f32_e32 v71, v64, v70
	v_mul_f32_e32 v72, v63, v70
	v_fma_f32 v71, v63, v69, -v71
	v_fmac_f32_e32 v72, v64, v69
	global_load_dwordx2 v[63:64], v[67:68], off offset:4000
	s_waitcnt vmcnt(0)
	v_mul_f32_e32 v67, v66, v64
	v_mul_f32_e32 v68, v65, v64
	v_fma_f32 v67, v65, v63, -v67
	v_fmac_f32_e32 v68, v66, v63
	ds_write2_b64 v75, v[71:72], v[67:68] offset0:194 offset1:244
	v_add_co_u32_e32 v67, vcc, s14, v73
	v_addc_co_u32_e32 v68, vcc, 0, v74, vcc
	global_load_dwordx2 v[69:70], v[67:68], off offset:2608
	v_add_u32_e32 v75, 0x1000, v59
	ds_read2_b64 v[63:66], v75 offset0:38 offset1:88
	s_waitcnt vmcnt(0) lgkmcnt(0)
	v_mul_f32_e32 v71, v64, v70
	v_mul_f32_e32 v72, v63, v70
	v_fma_f32 v71, v63, v69, -v71
	v_fmac_f32_e32 v72, v64, v69
	global_load_dwordx2 v[63:64], v[67:68], off offset:3008
	s_waitcnt vmcnt(0)
	v_mul_f32_e32 v69, v66, v64
	v_mul_f32_e32 v70, v65, v64
	v_fma_f32 v69, v65, v63, -v69
	v_fmac_f32_e32 v70, v66, v63
	ds_write2_b64 v75, v[71:72], v[69:70] offset0:38 offset1:88
	global_load_dwordx2 v[69:70], v[67:68], off offset:3408
	ds_read2_b64 v[63:66], v75 offset0:138 offset1:188
	s_waitcnt vmcnt(0) lgkmcnt(0)
	v_mul_f32_e32 v71, v64, v70
	v_mul_f32_e32 v72, v63, v70
	v_fma_f32 v71, v63, v69, -v71
	v_fmac_f32_e32 v72, v64, v69
	global_load_dwordx2 v[63:64], v[67:68], off offset:3808
	s_waitcnt vmcnt(0)
	v_mul_f32_e32 v67, v66, v64
	v_fma_f32 v67, v65, v63, -v67
	v_mul_f32_e32 v68, v65, v64
	v_add_co_u32_e32 v65, vcc, 0x3000, v73
	v_fmac_f32_e32 v68, v66, v63
	v_addc_co_u32_e32 v66, vcc, 0, v74, vcc
	global_load_dwordx2 v[65:66], v[65:66], off offset:112
	ds_read_b64 v[63:64], v59 offset:6000
	ds_write2_b64 v75, v[71:72], v[67:68] offset0:138 offset1:188
	s_waitcnt vmcnt(0) lgkmcnt(1)
	v_mul_f32_e32 v67, v64, v66
	v_mul_f32_e32 v68, v63, v66
	v_fma_f32 v67, v63, v65, -v67
	v_fmac_f32_e32 v68, v64, v65
	ds_write_b64 v59, v[67:68] offset:6000
.LBB0_13:
	s_or_b64 exec, exec, s[12:13]
	s_waitcnt lgkmcnt(0)
	s_barrier
	s_and_saveexec_b64 s[12:13], s[0:1]
	s_cbranch_execz .LBB0_15
; %bb.14:
	v_add_u32_e32 v24, 0x800, v59
	ds_read2_b64 v[36:39], v59 offset1:50
	ds_read2_b64 v[40:43], v59 offset0:100 offset1:150
	ds_read2_b64 v[44:47], v59 offset0:200 offset1:250
	;; [unrolled: 1-line block ×4, first 2 shown]
	v_add_u32_e32 v24, 0xc00, v59
	v_add_u32_e32 v32, 0x1000, v59
	ds_read2_b64 v[24:27], v24 offset0:116 offset1:166
	ds_read2_b64 v[28:31], v32 offset0:88 offset1:138
	;; [unrolled: 1-line block ×3, first 2 shown]
.LBB0_15:
	s_or_b64 exec, exec, s[12:13]
	s_waitcnt lgkmcnt(3)
	v_sub_f32_e32 v52, v36, v52
	v_sub_f32_e32 v53, v37, v53
	s_waitcnt lgkmcnt(1)
	v_sub_f32_e32 v28, v44, v28
	v_sub_f32_e32 v29, v45, v29
	;; [unrolled: 1-line block ×4, first 2 shown]
	s_waitcnt lgkmcnt(0)
	v_sub_f32_e32 v32, v48, v32
	v_sub_f32_e32 v33, v49, v33
	v_fma_f32 v36, v36, 2.0, -v52
	v_fma_f32 v37, v37, 2.0, -v53
	v_fma_f32 v44, v44, 2.0, -v28
	v_fma_f32 v45, v45, 2.0, -v29
	v_fma_f32 v40, v40, 2.0, -v24
	v_fma_f32 v41, v41, 2.0, -v25
	v_fma_f32 v48, v48, 2.0, -v32
	v_fma_f32 v49, v49, 2.0, -v33
	v_sub_f32_e32 v54, v38, v54
	v_sub_f32_e32 v63, v39, v55
	;; [unrolled: 1-line block ×6, first 2 shown]
	v_fma_f32 v38, v38, 2.0, -v54
	v_fma_f32 v39, v39, 2.0, -v63
	;; [unrolled: 1-line block ×4, first 2 shown]
	v_sub_f32_e32 v27, v43, v27
	v_fma_f32 v42, v42, 2.0, -v26
	v_sub_f32_e32 v35, v51, v35
	v_fma_f32 v65, v50, 2.0, -v34
	v_sub_f32_e32 v44, v36, v44
	v_sub_f32_e32 v45, v37, v45
	v_add_f32_e32 v46, v29, v52
	v_sub_f32_e32 v50, v53, v28
	v_sub_f32_e32 v66, v40, v48
	v_sub_f32_e32 v67, v41, v49
	v_fma_f32 v43, v43, 2.0, -v27
	v_fma_f32 v51, v51, 2.0, -v35
	;; [unrolled: 1-line block ×8, first 2 shown]
	v_add_f32_e32 v33, v33, v24
	v_sub_f32_e32 v32, v25, v32
	v_sub_f32_e32 v47, v38, v55
	;; [unrolled: 1-line block ×3, first 2 shown]
	v_add_f32_e32 v53, v31, v54
	v_sub_f32_e32 v55, v63, v30
	v_sub_f32_e32 v69, v42, v65
	;; [unrolled: 1-line block ×3, first 2 shown]
	v_mov_b32_e32 v65, v46
	v_mov_b32_e32 v66, v50
	v_fma_f32 v52, v24, 2.0, -v33
	v_fma_f32 v68, v25, 2.0, -v32
	;; [unrolled: 1-line block ×4, first 2 shown]
	v_sub_f32_e32 v70, v43, v51
	v_add_f32_e32 v35, v35, v26
	v_sub_f32_e32 v34, v27, v34
	v_sub_f32_e32 v24, v36, v40
	v_sub_f32_e32 v25, v37, v41
	v_mov_b32_e32 v40, v28
	v_mov_b32_e32 v41, v29
	v_fmac_f32_e32 v65, 0x3f3504f3, v33
	v_fmac_f32_e32 v66, 0x3f3504f3, v32
	v_fma_f32 v38, v38, 2.0, -v47
	v_fma_f32 v39, v39, 2.0, -v48
	;; [unrolled: 1-line block ×6, first 2 shown]
	v_fmac_f32_e32 v40, 0xbf3504f3, v52
	v_fmac_f32_e32 v41, 0xbf3504f3, v68
	;; [unrolled: 1-line block ×4, first 2 shown]
	v_mov_b32_e32 v32, v30
	v_mov_b32_e32 v33, v31
	v_fma_f32 v49, v36, 2.0, -v24
	v_fma_f32 v51, v37, 2.0, -v25
	v_fmac_f32_e32 v40, 0x3f3504f3, v68
	v_fmac_f32_e32 v41, 0xbf3504f3, v52
	v_sub_f32_e32 v37, v38, v42
	v_sub_f32_e32 v36, v39, v43
	v_fmac_f32_e32 v32, 0xbf3504f3, v26
	v_fmac_f32_e32 v33, 0xbf3504f3, v27
	v_fma_f32 v52, v28, 2.0, -v40
	v_fma_f32 v54, v29, 2.0, -v41
	;; [unrolled: 1-line block ×4, first 2 shown]
	v_fmac_f32_e32 v32, 0x3f3504f3, v27
	v_fmac_f32_e32 v33, 0xbf3504f3, v26
	v_mov_b32_e32 v38, v40
	v_mov_b32_e32 v39, v41
	v_add_f32_e32 v63, v67, v44
	v_fma_f32 v26, v30, 2.0, -v32
	v_fma_f32 v27, v31, 2.0, -v33
	v_add_f32_e32 v67, v70, v47
	v_sub_f32_e32 v68, v48, v69
	v_mov_b32_e32 v69, v53
	v_mov_b32_e32 v70, v55
	;; [unrolled: 1-line block ×4, first 2 shown]
	v_fmac_f32_e32 v38, 0x3ec3ef15, v32
	v_fmac_f32_e32 v39, 0x3ec3ef15, v33
	;; [unrolled: 1-line block ×12, first 2 shown]
	v_fma_f32 v26, v40, 2.0, -v38
	v_fma_f32 v27, v41, 2.0, -v39
	v_mov_b32_e32 v40, v63
	v_mov_b32_e32 v41, v64
	;; [unrolled: 1-line block ×4, first 2 shown]
	v_fmac_f32_e32 v40, 0x3f3504f3, v67
	v_fmac_f32_e32 v41, 0x3f3504f3, v68
	;; [unrolled: 1-line block ×8, first 2 shown]
	v_sub_f32_e32 v28, v49, v28
	v_sub_f32_e32 v29, v51, v29
	v_fma_f32 v32, v63, 2.0, -v40
	v_fma_f32 v33, v64, 2.0, -v41
	;; [unrolled: 1-line block ×4, first 2 shown]
	s_barrier
	s_and_saveexec_b64 s[12:13], s[0:1]
	s_cbranch_execz .LBB0_17
; %bb.16:
	v_fma_f32 v46, v46, 2.0, -v65
	v_fma_f32 v53, v53, 2.0, -v69
	v_mov_b32_e32 v65, v46
	v_fma_f32 v55, v55, 2.0, -v70
	v_fmac_f32_e32 v65, 0xbec3ef15, v53
	v_fmac_f32_e32 v65, 0x3f6c835e, v55
	v_fma_f32 v45, v45, 2.0, -v64
	v_fma_f32 v44, v44, 2.0, -v63
	;; [unrolled: 1-line block ×5, first 2 shown]
	v_mov_b32_e32 v64, v45
	v_fma_f32 v47, v47, 2.0, -v67
	v_mov_b32_e32 v63, v44
	v_mov_b32_e32 v66, v50
	v_fmac_f32_e32 v64, 0xbf3504f3, v46
	v_fmac_f32_e32 v63, 0xbf3504f3, v47
	;; [unrolled: 1-line block ×5, first 2 shown]
	v_sub_f32_e32 v37, v25, v37
	v_add_f32_e32 v36, v36, v24
	v_fmac_f32_e32 v66, 0xbf6c835e, v53
	v_fma_f32 v68, v45, 2.0, -v64
	v_fma_f32 v67, v44, 2.0, -v63
	;; [unrolled: 1-line block ×6, first 2 shown]
	v_lshlrev_b32_e32 v48, 3, v61
	v_fma_f32 v25, v25, 2.0, -v37
	v_fma_f32 v24, v24, 2.0, -v36
	;; [unrolled: 1-line block ×3, first 2 shown]
	ds_write_b128 v48, v[44:47]
	ds_write_b128 v48, v[67:70] offset:16
	ds_write_b128 v48, v[24:27] offset:32
	;; [unrolled: 1-line block ×7, first 2 shown]
.LBB0_17:
	s_or_b64 exec, exec, s[12:13]
	s_waitcnt lgkmcnt(0)
	s_barrier
	ds_read2_b64 v[37:40], v59 offset1:160
	v_add_u32_e32 v36, 0x800, v59
	ds_read2_b64 v[41:44], v36 offset0:64 offset1:224
	ds_read_b64 v[24:25], v59 offset:5120
	s_waitcnt lgkmcnt(0)
	s_barrier
	v_mul_f32_e32 v45, v5, v40
	v_mul_f32_e32 v5, v5, v39
	v_fmac_f32_e32 v45, v4, v39
	v_fma_f32 v39, v4, v40, -v5
	v_mul_f32_e32 v5, v7, v42
	v_mul_f32_e32 v4, v7, v41
	;; [unrolled: 1-line block ×3, first 2 shown]
	v_fmac_f32_e32 v5, v6, v41
	v_fmac_f32_e32 v7, v0, v43
	v_mul_f32_e32 v1, v1, v43
	v_fma_f32 v40, v6, v42, -v4
	v_fma_f32 v41, v0, v44, -v1
	v_mul_f32_e32 v42, v3, v25
	v_mul_f32_e32 v0, v3, v24
	v_add_f32_e32 v1, v5, v7
	v_fmac_f32_e32 v42, v2, v24
	v_fma_f32 v43, v2, v25, -v0
	v_fma_f32 v24, -0.5, v1, v37
	v_sub_f32_e32 v1, v39, v43
	v_mov_b32_e32 v2, v24
	v_fmac_f32_e32 v2, 0xbf737871, v1
	v_sub_f32_e32 v3, v40, v41
	v_sub_f32_e32 v4, v45, v5
	;; [unrolled: 1-line block ×3, first 2 shown]
	v_fmac_f32_e32 v24, 0x3f737871, v1
	v_fmac_f32_e32 v2, 0xbf167918, v3
	v_add_f32_e32 v4, v4, v6
	v_fmac_f32_e32 v24, 0x3f167918, v3
	v_fmac_f32_e32 v2, 0x3e9e377a, v4
	;; [unrolled: 1-line block ×3, first 2 shown]
	v_add_f32_e32 v4, v45, v42
	v_fma_f32 v6, -0.5, v4, v37
	v_mov_b32_e32 v4, v6
	v_add_f32_e32 v0, v37, v45
	v_fmac_f32_e32 v4, 0x3f737871, v3
	v_sub_f32_e32 v25, v5, v45
	v_sub_f32_e32 v37, v7, v42
	v_fmac_f32_e32 v6, 0xbf737871, v3
	v_fmac_f32_e32 v4, 0xbf167918, v1
	v_add_f32_e32 v25, v25, v37
	v_fmac_f32_e32 v6, 0x3f167918, v1
	v_add_f32_e32 v3, v40, v41
	v_add_f32_e32 v0, v0, v5
	v_fmac_f32_e32 v4, 0x3e9e377a, v25
	v_fmac_f32_e32 v6, 0x3e9e377a, v25
	v_fma_f32 v25, -0.5, v3, v38
	v_add_f32_e32 v0, v0, v7
	v_sub_f32_e32 v37, v45, v42
	v_mov_b32_e32 v3, v25
	v_add_f32_e32 v0, v0, v42
	v_fmac_f32_e32 v3, 0x3f737871, v37
	v_sub_f32_e32 v42, v5, v7
	v_sub_f32_e32 v5, v39, v40
	;; [unrolled: 1-line block ×3, first 2 shown]
	v_fmac_f32_e32 v25, 0xbf737871, v37
	v_fmac_f32_e32 v3, 0x3f167918, v42
	v_add_f32_e32 v5, v5, v7
	v_fmac_f32_e32 v25, 0xbf167918, v42
	v_fmac_f32_e32 v3, 0x3e9e377a, v5
	;; [unrolled: 1-line block ×3, first 2 shown]
	v_add_f32_e32 v5, v39, v43
	v_fma_f32 v7, -0.5, v5, v38
	v_add_f32_e32 v1, v38, v39
	v_mov_b32_e32 v5, v7
	v_add_f32_e32 v1, v1, v40
	v_fmac_f32_e32 v5, 0xbf737871, v42
	v_sub_f32_e32 v38, v40, v39
	v_sub_f32_e32 v39, v41, v43
	v_fmac_f32_e32 v7, 0x3f737871, v42
	v_add_f32_e32 v1, v1, v41
	v_fmac_f32_e32 v5, 0x3f167918, v37
	v_add_f32_e32 v38, v38, v39
	v_fmac_f32_e32 v7, 0xbf167918, v37
	v_add_f32_e32 v1, v1, v43
	v_fmac_f32_e32 v5, 0x3e9e377a, v38
	v_fmac_f32_e32 v7, 0x3e9e377a, v38
	ds_write2_b64 v62, v[0:1], v[2:3] offset1:16
	ds_write2_b64 v62, v[4:5], v[6:7] offset0:32 offset1:48
	ds_write_b64 v62, v[24:25] offset:512
	s_waitcnt lgkmcnt(0)
	s_barrier
	s_and_saveexec_b64 s[12:13], s[2:3]
	s_cbranch_execz .LBB0_19
; %bb.18:
	v_add_u32_e32 v28, 0xc00, v59
	ds_read2_b64 v[0:3], v59 offset1:80
	ds_read2_b64 v[4:7], v59 offset0:160 offset1:240
	ds_read2_b64 v[24:27], v36 offset0:64 offset1:144
	;; [unrolled: 1-line block ×3, first 2 shown]
	v_add_u32_e32 v28, 0x1000, v59
	ds_read2_b64 v[28:31], v28 offset0:128 offset1:208
.LBB0_19:
	s_or_b64 exec, exec, s[12:13]
	s_and_saveexec_b64 s[12:13], s[2:3]
	s_cbranch_execz .LBB0_21
; %bb.20:
	s_waitcnt lgkmcnt(2)
	v_mul_f32_e32 v37, v23, v24
	s_waitcnt lgkmcnt(1)
	v_mul_f32_e32 v40, v19, v32
	v_mul_f32_e32 v23, v23, v25
	;; [unrolled: 1-line block ×3, first 2 shown]
	v_fma_f32 v37, v22, v25, -v37
	v_fma_f32 v40, v18, v33, -v40
	v_fmac_f32_e32 v23, v22, v24
	v_fmac_f32_e32 v19, v18, v32
	v_mul_f32_e32 v18, v21, v7
	v_mul_f32_e32 v22, v17, v27
	s_waitcnt lgkmcnt(0)
	v_mul_f32_e32 v24, v58, v31
	v_mul_f32_e32 v25, v13, v35
	v_mul_f32_e32 v36, v11, v4
	v_mul_f32_e32 v39, v15, v28
	v_mul_f32_e32 v11, v11, v5
	v_mul_f32_e32 v15, v15, v29
	v_fmac_f32_e32 v18, v20, v6
	v_fmac_f32_e32 v22, v16, v26
	;; [unrolled: 1-line block ×4, first 2 shown]
	v_fma_f32 v39, v14, v29, -v39
	v_fmac_f32_e32 v11, v10, v4
	v_fmac_f32_e32 v15, v14, v28
	v_sub_f32_e32 v4, v18, v22
	v_sub_f32_e32 v28, v24, v25
	v_mul_f32_e32 v29, v9, v3
	v_add_f32_e32 v28, v28, v4
	v_fmac_f32_e32 v29, v8, v2
	v_add_f32_e32 v4, v25, v22
	v_fma_f32 v32, -0.5, v4, v29
	v_mul_f32_e32 v4, v21, v6
	v_fma_f32 v7, v20, v7, -v4
	v_mul_f32_e32 v4, v58, v30
	v_fma_f32 v20, v57, v31, -v4
	;; [unrolled: 2-line block ×4, first 2 shown]
	v_fma_f32 v36, v10, v5, -v36
	v_sub_f32_e32 v4, v7, v16
	v_sub_f32_e32 v6, v20, v12
	v_mul_f32_e32 v2, v9, v2
	v_sub_f32_e32 v38, v36, v37
	v_sub_f32_e32 v41, v39, v40
	v_add_f32_e32 v17, v6, v4
	v_fma_f32 v3, v8, v3, -v2
	v_add_f32_e32 v2, v12, v16
	v_sub_f32_e32 v4, v37, v36
	v_sub_f32_e32 v6, v40, v39
	v_add_f32_e32 v38, v41, v38
	v_add_f32_e32 v41, v40, v37
	v_fma_f32 v9, -0.5, v2, v3
	v_add_f32_e32 v6, v6, v4
	v_add_f32_e32 v4, v39, v36
	v_fma_f32 v41, -0.5, v41, v1
	v_sub_f32_e32 v8, v18, v24
	v_mov_b32_e32 v26, v9
	v_fma_f32 v33, -0.5, v4, v1
	v_add_f32_e32 v1, v36, v1
	v_fmac_f32_e32 v26, 0xbf737871, v8
	v_sub_f32_e32 v27, v22, v25
	v_fmac_f32_e32 v9, 0x3f737871, v8
	v_add_f32_e32 v1, v37, v1
	v_fmac_f32_e32 v26, 0xbf167918, v27
	v_sub_f32_e32 v4, v22, v18
	v_sub_f32_e32 v35, v25, v24
	v_fmac_f32_e32 v9, 0x3f167918, v27
	v_add_f32_e32 v1, v40, v1
	v_fmac_f32_e32 v26, 0x3e9e377a, v17
	v_add_f32_e32 v35, v35, v4
	v_add_f32_e32 v4, v24, v18
	v_fmac_f32_e32 v9, 0x3e9e377a, v17
	v_add_f32_e32 v17, v39, v1
	v_add_f32_e32 v1, v7, v3
	v_fma_f32 v42, -0.5, v4, v29
	v_sub_f32_e32 v4, v16, v7
	v_sub_f32_e32 v44, v12, v20
	v_add_f32_e32 v1, v16, v1
	v_sub_f32_e32 v10, v23, v19
	v_mov_b32_e32 v34, v33
	v_add_f32_e32 v44, v44, v4
	v_add_f32_e32 v4, v20, v7
	;; [unrolled: 1-line block ×3, first 2 shown]
	v_sub_f32_e32 v5, v11, v15
	v_mov_b32_e32 v14, v41
	v_sub_f32_e32 v21, v7, v20
	v_mov_b32_e32 v30, v32
	v_sub_f32_e32 v13, v16, v12
	v_fmac_f32_e32 v34, 0x3f737871, v10
	v_mov_b32_e32 v43, v42
	v_fma_f32 v45, -0.5, v4, v3
	v_fmac_f32_e32 v33, 0xbf737871, v10
	v_add_f32_e32 v20, v20, v1
	v_sub_f32_e32 v1, v11, v23
	v_sub_f32_e32 v3, v15, v19
	v_fmac_f32_e32 v14, 0xbf737871, v5
	v_fmac_f32_e32 v30, 0x3f737871, v21
	;; [unrolled: 1-line block ×8, first 2 shown]
	v_add_f32_e32 v7, v3, v1
	v_add_f32_e32 v1, v19, v23
	v_sub_f32_e32 v3, v23, v11
	v_sub_f32_e32 v5, v19, v15
	v_fmac_f32_e32 v14, 0xbf167918, v10
	v_fmac_f32_e32 v30, 0x3f167918, v13
	;; [unrolled: 1-line block ×3, first 2 shown]
	v_mov_b32_e32 v46, v45
	v_fmac_f32_e32 v42, 0xbf167918, v21
	v_fmac_f32_e32 v41, 0x3f167918, v10
	v_fmac_f32_e32 v32, 0xbf167918, v13
	v_fma_f32 v21, -0.5, v1, v0
	v_add_f32_e32 v5, v5, v3
	v_add_f32_e32 v3, v15, v11
	v_fmac_f32_e32 v14, 0x3e9e377a, v38
	v_fmac_f32_e32 v30, 0x3e9e377a, v28
	v_mul_f32_e32 v31, 0xbf4f1bbd, v26
	v_fmac_f32_e32 v46, 0x3f737871, v27
	v_fmac_f32_e32 v45, 0xbf737871, v27
	;; [unrolled: 1-line block ×4, first 2 shown]
	v_mul_f32_e32 v13, 0x3f4f1bbd, v9
	v_sub_f32_e32 v12, v36, v39
	v_mov_b32_e32 v27, v21
	v_mul_f32_e32 v26, 0xbf167918, v26
	v_fma_f32 v28, -0.5, v3, v0
	v_mul_f32_e32 v38, 0xbf167918, v9
	v_add_f32_e32 v0, v11, v0
	v_add_f32_e32 v9, v18, v29
	v_fmac_f32_e32 v31, 0x3f167918, v30
	v_fmac_f32_e32 v46, 0xbf167918, v8
	v_fmac_f32_e32 v45, 0x3f167918, v8
	v_fmac_f32_e32 v27, 0x3f737871, v12
	v_sub_f32_e32 v16, v37, v40
	v_fmac_f32_e32 v26, 0xbf4f1bbd, v30
	v_mov_b32_e32 v30, v28
	v_fmac_f32_e32 v21, 0xbf737871, v12
	v_add_f32_e32 v0, v23, v0
	v_add_f32_e32 v9, v22, v9
	v_fmac_f32_e32 v46, 0x3e9e377a, v44
	v_fmac_f32_e32 v45, 0x3e9e377a, v44
	;; [unrolled: 1-line block ×6, first 2 shown]
	v_add_f32_e32 v0, v19, v0
	v_add_f32_e32 v9, v25, v9
	v_fmac_f32_e32 v43, 0x3e9e377a, v35
	v_mul_f32_e32 v47, 0xbe9e377a, v46
	v_fmac_f32_e32 v42, 0x3e9e377a, v35
	v_mul_f32_e32 v35, 0x3e9e377a, v45
	v_fmac_f32_e32 v13, 0x3f167918, v32
	v_fmac_f32_e32 v27, 0x3e9e377a, v7
	;; [unrolled: 1-line block ×3, first 2 shown]
	v_mul_f32_e32 v36, 0xbf737871, v46
	v_fmac_f32_e32 v28, 0xbf167918, v12
	v_mul_f32_e32 v37, 0xbf737871, v45
	v_fmac_f32_e32 v21, 0x3e9e377a, v7
	v_fmac_f32_e32 v38, 0x3f4f1bbd, v32
	v_add_f32_e32 v0, v15, v0
	v_add_f32_e32 v19, v24, v9
	v_fmac_f32_e32 v34, 0x3e9e377a, v6
	v_fmac_f32_e32 v47, 0x3f737871, v43
	;; [unrolled: 1-line block ×4, first 2 shown]
	v_sub_f32_e32 v10, v17, v20
	v_fmac_f32_e32 v30, 0x3e9e377a, v5
	v_fmac_f32_e32 v36, 0xbe9e377a, v43
	;; [unrolled: 1-line block ×4, first 2 shown]
	v_sub_f32_e32 v9, v0, v19
	v_add_f32_e32 v12, v14, v31
	v_add_f32_e32 v18, v41, v13
	v_add_f32_e32 v20, v17, v20
	v_add_f32_e32 v11, v27, v26
	v_add_f32_e32 v17, v21, v38
	v_add_f32_e32 v19, v0, v19
	v_add_u32_e32 v0, 0x800, v59
	v_sub_f32_e32 v2, v14, v31
	v_sub_f32_e32 v6, v33, v35
	;; [unrolled: 1-line block ×5, first 2 shown]
	v_add_f32_e32 v14, v34, v47
	v_add_f32_e32 v16, v33, v35
	;; [unrolled: 1-line block ×4, first 2 shown]
	ds_write2_b64 v59, v[19:20], v[17:18] offset1:80
	ds_write2_b64 v59, v[15:16], v[13:14] offset0:160 offset1:240
	ds_write2_b64 v0, v[11:12], v[9:10] offset0:64 offset1:144
	v_add_u32_e32 v0, 0xc00, v59
	v_sub_f32_e32 v4, v34, v47
	v_sub_f32_e32 v1, v27, v26
	;; [unrolled: 1-line block ×3, first 2 shown]
	ds_write2_b64 v0, v[7:8], v[5:6] offset0:96 offset1:176
	v_add_u32_e32 v0, 0x1000, v59
	ds_write2_b64 v0, v[3:4], v[1:2] offset0:128 offset1:208
.LBB0_21:
	s_or_b64 exec, exec, s[12:13]
	s_waitcnt lgkmcnt(0)
	s_barrier
	s_and_b64 exec, exec, s[0:1]
	s_cbranch_execz .LBB0_23
; %bb.22:
	global_load_dwordx2 v[8:9], v59, s[8:9]
	global_load_dwordx2 v[10:11], v59, s[8:9] offset:400
	global_load_dwordx2 v[12:13], v59, s[8:9] offset:800
	;; [unrolled: 1-line block ×5, first 2 shown]
	ds_read2_b64 v[4:7], v59 offset0:150 offset1:200
	ds_read_b64 v[20:21], v59
	v_mad_u64_u32 v[18:19], s[0:1], s6, v56, 0
	v_mad_u64_u32 v[22:23], s[2:3], s4, v60, 0
	v_mov_b32_e32 v28, s9
	s_mul_i32 s3, s5, 0x190
	s_mul_hi_u32 s6, s4, 0x190
	v_add_co_u32_e32 v34, vcc, s8, v59
	v_addc_co_u32_e32 v35, vcc, 0, v28, vcc
	s_add_i32 s3, s6, s3
	s_mul_i32 s2, s4, 0x190
	v_mov_b32_e32 v31, s11
	ds_read2_b64 v[0:3], v59 offset0:50 offset1:100
	v_mov_b32_e32 v32, s3
	s_mov_b32 s0, 0x47ae147b
	s_mov_b32 s1, 0x3f547ae1
	s_waitcnt vmcnt(4) lgkmcnt(0)
	v_mul_f32_e32 v33, v1, v11
	v_mul_f32_e32 v11, v0, v11
	s_waitcnt vmcnt(2)
	v_mul_f32_e32 v37, v5, v15
	v_mul_f32_e32 v15, v4, v15
	v_fmac_f32_e32 v37, v4, v14
	v_fma_f32 v39, v14, v5, -v15
	global_load_dwordx2 v[14:15], v59, s[8:9] offset:2800
	ds_read_b64 v[26:27], v59 offset:6000
	v_mad_u64_u32 v[28:29], s[6:7], s7, v56, v[19:20]
	s_waitcnt vmcnt(1)
	v_mad_u64_u32 v[29:30], s[4:5], s5, v60, v[23:24]
	v_mov_b32_e32 v19, v28
	v_lshlrev_b64 v[18:19], 3, v[18:19]
	v_mov_b32_e32 v23, v29
	v_lshlrev_b64 v[22:23], 3, v[22:23]
	v_add_co_u32_e32 v18, vcc, s10, v18
	v_addc_co_u32_e32 v19, vcc, v31, v19, vcc
	v_add_co_u32_e32 v18, vcc, v18, v22
	v_addc_co_u32_e32 v19, vcc, v19, v23, vcc
	v_mov_b32_e32 v30, s3
	v_add_co_u32_e32 v22, vcc, s2, v18
	v_addc_co_u32_e32 v23, vcc, v19, v30, vcc
	global_load_dwordx2 v[30:31], v59, s[8:9] offset:2400
	v_add_co_u32_e32 v28, vcc, s2, v22
	v_addc_co_u32_e32 v29, vcc, v23, v32, vcc
	v_mul_f32_e32 v32, v21, v9
	v_mul_f32_e32 v9, v20, v9
	v_mul_f32_e32 v36, v3, v13
	v_mul_f32_e32 v13, v2, v13
	v_fmac_f32_e32 v32, v20, v8
	v_fma_f32 v8, v8, v21, -v9
	v_fmac_f32_e32 v33, v0, v10
	v_fma_f32 v9, v10, v1, -v11
	;; [unrolled: 2-line block ×3, first 2 shown]
	v_cvt_f64_f32_e32 v[0:1], v32
	v_cvt_f64_f32_e32 v[2:3], v8
	;; [unrolled: 1-line block ×4, first 2 shown]
	v_mul_f64 v[0:1], v[0:1], s[0:1]
	v_mul_f64 v[2:3], v[2:3], s[0:1]
	;; [unrolled: 1-line block ×4, first 2 shown]
	v_cvt_f64_f32_e32 v[10:11], v36
	v_cvt_f64_f32_e32 v[12:13], v12
	;; [unrolled: 1-line block ×4, first 2 shown]
	v_cvt_f32_f64_e32 v0, v[0:1]
	v_cvt_f32_f64_e32 v1, v[2:3]
	;; [unrolled: 1-line block ×4, first 2 shown]
	global_store_dwordx2 v[18:19], v[0:1], off
	global_store_dwordx2 v[22:23], v[2:3], off
	v_mul_f64 v[10:11], v[10:11], s[0:1]
	v_mul_f64 v[12:13], v[12:13], s[0:1]
	global_load_dwordx2 v[8:9], v59, s[8:9] offset:3200
	v_mul_f32_e32 v38, v7, v17
	v_mul_f64 v[20:21], v[20:21], s[0:1]
	v_mul_f64 v[32:33], v[32:33], s[0:1]
	v_fmac_f32_e32 v38, v6, v16
	v_cvt_f64_f32_e32 v[0:1], v38
	v_cvt_f32_f64_e32 v4, v[10:11]
	v_cvt_f32_f64_e32 v5, v[12:13]
	global_load_dwordx2 v[12:13], v59, s[8:9] offset:3600
	v_mul_f64 v[10:11], v[0:1], s[0:1]
	v_mul_f32_e32 v0, v6, v17
	v_fma_f32 v0, v16, v7, -v0
	global_store_dwordx2 v[28:29], v[4:5], off
	v_cvt_f32_f64_e32 v4, v[20:21]
	v_cvt_f32_f64_e32 v5, v[32:33]
	v_cvt_f64_f32_e32 v[6:7], v0
	v_add_u32_e32 v0, 0x400, v59
	ds_read2_b64 v[0:3], v0 offset0:122 offset1:172
	v_mov_b32_e32 v18, s3
	v_add_co_u32_e32 v16, vcc, s2, v28
	v_addc_co_u32_e32 v17, vcc, v29, v18, vcc
	global_store_dwordx2 v[16:17], v[4:5], off
	v_mul_f64 v[4:5], v[6:7], s[0:1]
	s_waitcnt lgkmcnt(0)
	v_mul_f32_e32 v7, v1, v25
	v_fmac_f32_e32 v7, v0, v24
	v_cvt_f32_f64_e32 v6, v[10:11]
	v_cvt_f64_f32_e32 v[10:11], v7
	v_add_co_u32_e32 v16, vcc, s2, v16
	v_addc_co_u32_e32 v17, vcc, v17, v18, vcc
	v_cvt_f32_f64_e32 v7, v[4:5]
	v_mul_f64 v[4:5], v[10:11], s[0:1]
	global_load_dwordx2 v[10:11], v59, s[8:9] offset:4000
	s_movk_i32 s4, 0x1000
	v_add_co_u32_e32 v18, vcc, s4, v34
	v_addc_co_u32_e32 v19, vcc, 0, v35, vcc
	global_load_dwordx2 v[20:21], v[18:19], off offset:304
	v_mul_f32_e32 v0, v0, v25
	v_fma_f32 v0, v24, v1, -v0
	v_cvt_f64_f32_e32 v[0:1], v0
	v_cvt_f32_f64_e32 v4, v[4:5]
	global_store_dwordx2 v[16:17], v[6:7], off
	v_add_u32_e32 v25, 0x800, v59
	v_mul_f64 v[0:1], v[0:1], s[0:1]
	v_mov_b32_e32 v24, s3
	v_add_co_u32_e32 v16, vcc, s2, v16
	v_addc_co_u32_e32 v17, vcc, v17, v24, vcc
	v_cvt_f32_f64_e32 v5, v[0:1]
	s_waitcnt vmcnt(9)
	v_mul_f32_e32 v0, v3, v31
	v_fmac_f32_e32 v0, v2, v30
	v_cvt_f64_f32_e32 v[6:7], v0
	v_mul_f32_e32 v0, v2, v31
	v_fma_f32 v0, v30, v3, -v0
	v_cvt_f64_f32_e32 v[22:23], v0
	ds_read2_b64 v[0:3], v25 offset0:94 offset1:144
	global_store_dwordx2 v[16:17], v[4:5], off
	v_mul_f64 v[4:5], v[6:7], s[0:1]
	v_mul_f64 v[6:7], v[22:23], s[0:1]
	s_waitcnt lgkmcnt(0)
	v_mul_f32_e32 v22, v1, v15
	v_fmac_f32_e32 v22, v0, v14
	v_mul_f32_e32 v0, v0, v15
	v_fma_f32 v0, v14, v1, -v0
	v_cvt_f64_f32_e32 v[0:1], v0
	v_cvt_f64_f32_e32 v[22:23], v22
	v_cvt_f32_f64_e32 v4, v[4:5]
	v_cvt_f32_f64_e32 v5, v[6:7]
	v_mul_f64 v[0:1], v[0:1], s[0:1]
	v_mul_f64 v[6:7], v[22:23], s[0:1]
	v_mov_b32_e32 v15, s3
	v_add_co_u32_e32 v14, vcc, s2, v16
	v_addc_co_u32_e32 v15, vcc, v17, v15, vcc
	global_store_dwordx2 v[14:15], v[4:5], off
	v_cvt_f32_f64_e32 v5, v[0:1]
	s_waitcnt vmcnt(8)
	v_mul_f32_e32 v0, v3, v9
	v_fmac_f32_e32 v0, v2, v8
	v_cvt_f32_f64_e32 v4, v[6:7]
	v_cvt_f64_f32_e32 v[6:7], v0
	v_mul_f32_e32 v0, v2, v9
	v_fma_f32 v0, v8, v3, -v0
	v_cvt_f64_f32_e32 v[8:9], v0
	ds_read2_b64 v[0:3], v25 offset0:194 offset1:244
	v_mov_b32_e32 v16, s3
	v_add_co_u32_e32 v14, vcc, s2, v14
	v_addc_co_u32_e32 v15, vcc, v15, v16, vcc
	global_store_dwordx2 v[14:15], v[4:5], off
	v_mul_f64 v[4:5], v[6:7], s[0:1]
	v_mul_f64 v[6:7], v[8:9], s[0:1]
	s_waitcnt vmcnt(8) lgkmcnt(0)
	v_mul_f32_e32 v8, v1, v13
	v_fmac_f32_e32 v8, v0, v12
	v_mul_f32_e32 v0, v0, v13
	v_fma_f32 v0, v12, v1, -v0
	v_cvt_f64_f32_e32 v[0:1], v0
	v_cvt_f64_f32_e32 v[8:9], v8
	v_cvt_f32_f64_e32 v4, v[4:5]
	v_cvt_f32_f64_e32 v5, v[6:7]
	v_mul_f64 v[0:1], v[0:1], s[0:1]
	v_mul_f64 v[6:7], v[8:9], s[0:1]
	v_mov_b32_e32 v9, s3
	v_add_co_u32_e32 v8, vcc, s2, v14
	v_addc_co_u32_e32 v9, vcc, v15, v9, vcc
	global_store_dwordx2 v[8:9], v[4:5], off
	v_cvt_f32_f64_e32 v5, v[0:1]
	s_waitcnt vmcnt(6)
	v_mul_f32_e32 v0, v3, v11
	v_fmac_f32_e32 v0, v2, v10
	v_cvt_f32_f64_e32 v4, v[6:7]
	v_cvt_f64_f32_e32 v[6:7], v0
	v_mul_f32_e32 v0, v2, v11
	v_fma_f32 v0, v10, v3, -v0
	v_add_u32_e32 v13, 0x1000, v59
	v_cvt_f64_f32_e32 v[10:11], v0
	ds_read2_b64 v[0:3], v13 offset0:38 offset1:88
	v_mov_b32_e32 v12, s3
	v_add_co_u32_e32 v8, vcc, s2, v8
	v_addc_co_u32_e32 v9, vcc, v9, v12, vcc
	global_store_dwordx2 v[8:9], v[4:5], off
	v_mul_f64 v[4:5], v[6:7], s[0:1]
	v_mul_f64 v[6:7], v[10:11], s[0:1]
	s_waitcnt vmcnt(6) lgkmcnt(0)
	v_mul_f32_e32 v10, v1, v21
	v_fmac_f32_e32 v10, v0, v20
	v_mul_f32_e32 v0, v0, v21
	v_fma_f32 v0, v20, v1, -v0
	v_cvt_f64_f32_e32 v[10:11], v10
	v_cvt_f64_f32_e32 v[0:1], v0
	v_cvt_f32_f64_e32 v4, v[4:5]
	v_cvt_f32_f64_e32 v5, v[6:7]
	v_mul_f64 v[6:7], v[10:11], s[0:1]
	v_mul_f64 v[0:1], v[0:1], s[0:1]
	v_mov_b32_e32 v10, s3
	v_add_co_u32_e32 v8, vcc, s2, v8
	v_addc_co_u32_e32 v9, vcc, v9, v10, vcc
	global_store_dwordx2 v[8:9], v[4:5], off
	v_cvt_f32_f64_e32 v4, v[6:7]
	v_cvt_f32_f64_e32 v5, v[0:1]
	v_mov_b32_e32 v1, s3
	v_add_co_u32_e32 v0, vcc, s2, v8
	v_addc_co_u32_e32 v1, vcc, v9, v1, vcc
	global_store_dwordx2 v[0:1], v[4:5], off
	global_load_dwordx2 v[4:5], v[18:19], off offset:704
	s_waitcnt vmcnt(0)
	v_mul_f32_e32 v6, v3, v5
	v_fmac_f32_e32 v6, v2, v4
	v_mul_f32_e32 v2, v2, v5
	v_fma_f32 v2, v4, v3, -v2
	v_cvt_f64_f32_e32 v[6:7], v6
	v_cvt_f64_f32_e32 v[2:3], v2
	v_mul_f64 v[4:5], v[6:7], s[0:1]
	v_mul_f64 v[2:3], v[2:3], s[0:1]
	v_add_co_u32_e32 v6, vcc, s2, v0
	v_cvt_f32_f64_e32 v4, v[4:5]
	v_cvt_f32_f64_e32 v5, v[2:3]
	v_mov_b32_e32 v2, s3
	v_addc_co_u32_e32 v7, vcc, v1, v2, vcc
	global_store_dwordx2 v[6:7], v[4:5], off
	global_load_dwordx2 v[4:5], v[18:19], off offset:1104
	ds_read2_b64 v[0:3], v13 offset0:138 offset1:188
	s_waitcnt vmcnt(0) lgkmcnt(0)
	v_mul_f32_e32 v8, v1, v5
	v_mul_f32_e32 v5, v0, v5
	v_fmac_f32_e32 v8, v0, v4
	v_fma_f32 v4, v4, v1, -v5
	v_cvt_f64_f32_e32 v[0:1], v8
	v_cvt_f64_f32_e32 v[4:5], v4
	v_mov_b32_e32 v8, s3
	v_mul_f64 v[0:1], v[0:1], s[0:1]
	v_mul_f64 v[4:5], v[4:5], s[0:1]
	v_cvt_f32_f64_e32 v0, v[0:1]
	v_cvt_f32_f64_e32 v1, v[4:5]
	v_add_co_u32_e32 v4, vcc, s2, v6
	v_addc_co_u32_e32 v5, vcc, v7, v8, vcc
	global_store_dwordx2 v[4:5], v[0:1], off
	global_load_dwordx2 v[0:1], v[18:19], off offset:1504
	s_waitcnt vmcnt(0)
	v_mul_f32_e32 v6, v3, v1
	v_mul_f32_e32 v1, v2, v1
	v_fmac_f32_e32 v6, v2, v0
	v_fma_f32 v2, v0, v3, -v1
	v_cvt_f64_f32_e32 v[0:1], v6
	v_cvt_f64_f32_e32 v[2:3], v2
	v_mov_b32_e32 v6, s3
	v_mul_f64 v[0:1], v[0:1], s[0:1]
	v_mul_f64 v[2:3], v[2:3], s[0:1]
	v_cvt_f32_f64_e32 v0, v[0:1]
	v_cvt_f32_f64_e32 v1, v[2:3]
	v_add_co_u32_e32 v2, vcc, s2, v4
	v_addc_co_u32_e32 v3, vcc, v5, v6, vcc
	global_store_dwordx2 v[2:3], v[0:1], off
	global_load_dwordx2 v[0:1], v[18:19], off offset:1904
	v_add_co_u32_e32 v2, vcc, s2, v2
	v_addc_co_u32_e32 v3, vcc, v3, v6, vcc
	s_waitcnt vmcnt(0)
	v_mul_f32_e32 v4, v27, v1
	v_mul_f32_e32 v1, v26, v1
	v_fmac_f32_e32 v4, v26, v0
	v_fma_f32 v5, v0, v27, -v1
	v_cvt_f64_f32_e32 v[0:1], v4
	v_cvt_f64_f32_e32 v[4:5], v5
	v_mul_f64 v[0:1], v[0:1], s[0:1]
	v_mul_f64 v[4:5], v[4:5], s[0:1]
	v_cvt_f32_f64_e32 v0, v[0:1]
	v_cvt_f32_f64_e32 v1, v[4:5]
	global_store_dwordx2 v[2:3], v[0:1], off
.LBB0_23:
	s_endpgm
	.section	.rodata,"a",@progbits
	.p2align	6, 0x0
	.amdhsa_kernel bluestein_single_back_len800_dim1_sp_op_CI_CI
		.amdhsa_group_segment_fixed_size 6400
		.amdhsa_private_segment_fixed_size 0
		.amdhsa_kernarg_size 104
		.amdhsa_user_sgpr_count 6
		.amdhsa_user_sgpr_private_segment_buffer 1
		.amdhsa_user_sgpr_dispatch_ptr 0
		.amdhsa_user_sgpr_queue_ptr 0
		.amdhsa_user_sgpr_kernarg_segment_ptr 1
		.amdhsa_user_sgpr_dispatch_id 0
		.amdhsa_user_sgpr_flat_scratch_init 0
		.amdhsa_user_sgpr_private_segment_size 0
		.amdhsa_uses_dynamic_stack 0
		.amdhsa_system_sgpr_private_segment_wavefront_offset 0
		.amdhsa_system_sgpr_workgroup_id_x 1
		.amdhsa_system_sgpr_workgroup_id_y 0
		.amdhsa_system_sgpr_workgroup_id_z 0
		.amdhsa_system_sgpr_workgroup_info 0
		.amdhsa_system_vgpr_workitem_id 0
		.amdhsa_next_free_vgpr 81
		.amdhsa_next_free_sgpr 20
		.amdhsa_reserve_vcc 1
		.amdhsa_reserve_flat_scratch 0
		.amdhsa_float_round_mode_32 0
		.amdhsa_float_round_mode_16_64 0
		.amdhsa_float_denorm_mode_32 3
		.amdhsa_float_denorm_mode_16_64 3
		.amdhsa_dx10_clamp 1
		.amdhsa_ieee_mode 1
		.amdhsa_fp16_overflow 0
		.amdhsa_exception_fp_ieee_invalid_op 0
		.amdhsa_exception_fp_denorm_src 0
		.amdhsa_exception_fp_ieee_div_zero 0
		.amdhsa_exception_fp_ieee_overflow 0
		.amdhsa_exception_fp_ieee_underflow 0
		.amdhsa_exception_fp_ieee_inexact 0
		.amdhsa_exception_int_div_zero 0
	.end_amdhsa_kernel
	.text
.Lfunc_end0:
	.size	bluestein_single_back_len800_dim1_sp_op_CI_CI, .Lfunc_end0-bluestein_single_back_len800_dim1_sp_op_CI_CI
                                        ; -- End function
	.section	.AMDGPU.csdata,"",@progbits
; Kernel info:
; codeLenInByte = 9796
; NumSgprs: 24
; NumVgprs: 81
; ScratchSize: 0
; MemoryBound: 0
; FloatMode: 240
; IeeeMode: 1
; LDSByteSize: 6400 bytes/workgroup (compile time only)
; SGPRBlocks: 2
; VGPRBlocks: 20
; NumSGPRsForWavesPerEU: 24
; NumVGPRsForWavesPerEU: 81
; Occupancy: 3
; WaveLimiterHint : 1
; COMPUTE_PGM_RSRC2:SCRATCH_EN: 0
; COMPUTE_PGM_RSRC2:USER_SGPR: 6
; COMPUTE_PGM_RSRC2:TRAP_HANDLER: 0
; COMPUTE_PGM_RSRC2:TGID_X_EN: 1
; COMPUTE_PGM_RSRC2:TGID_Y_EN: 0
; COMPUTE_PGM_RSRC2:TGID_Z_EN: 0
; COMPUTE_PGM_RSRC2:TIDIG_COMP_CNT: 0
	.type	__hip_cuid_a27d494de1a4dae9,@object ; @__hip_cuid_a27d494de1a4dae9
	.section	.bss,"aw",@nobits
	.globl	__hip_cuid_a27d494de1a4dae9
__hip_cuid_a27d494de1a4dae9:
	.byte	0                               ; 0x0
	.size	__hip_cuid_a27d494de1a4dae9, 1

	.ident	"AMD clang version 19.0.0git (https://github.com/RadeonOpenCompute/llvm-project roc-6.4.0 25133 c7fe45cf4b819c5991fe208aaa96edf142730f1d)"
	.section	".note.GNU-stack","",@progbits
	.addrsig
	.addrsig_sym __hip_cuid_a27d494de1a4dae9
	.amdgpu_metadata
---
amdhsa.kernels:
  - .args:
      - .actual_access:  read_only
        .address_space:  global
        .offset:         0
        .size:           8
        .value_kind:     global_buffer
      - .actual_access:  read_only
        .address_space:  global
        .offset:         8
        .size:           8
        .value_kind:     global_buffer
      - .actual_access:  read_only
        .address_space:  global
        .offset:         16
        .size:           8
        .value_kind:     global_buffer
      - .actual_access:  read_only
        .address_space:  global
        .offset:         24
        .size:           8
        .value_kind:     global_buffer
      - .actual_access:  read_only
        .address_space:  global
        .offset:         32
        .size:           8
        .value_kind:     global_buffer
      - .offset:         40
        .size:           8
        .value_kind:     by_value
      - .address_space:  global
        .offset:         48
        .size:           8
        .value_kind:     global_buffer
      - .address_space:  global
        .offset:         56
        .size:           8
        .value_kind:     global_buffer
      - .address_space:  global
        .offset:         64
        .size:           8
        .value_kind:     global_buffer
      - .address_space:  global
        .offset:         72
        .size:           8
        .value_kind:     global_buffer
      - .offset:         80
        .size:           4
        .value_kind:     by_value
      - .address_space:  global
        .offset:         88
        .size:           8
        .value_kind:     global_buffer
      - .address_space:  global
        .offset:         96
        .size:           8
        .value_kind:     global_buffer
    .group_segment_fixed_size: 6400
    .kernarg_segment_align: 8
    .kernarg_segment_size: 104
    .language:       OpenCL C
    .language_version:
      - 2
      - 0
    .max_flat_workgroup_size: 160
    .name:           bluestein_single_back_len800_dim1_sp_op_CI_CI
    .private_segment_fixed_size: 0
    .sgpr_count:     24
    .sgpr_spill_count: 0
    .symbol:         bluestein_single_back_len800_dim1_sp_op_CI_CI.kd
    .uniform_work_group_size: 1
    .uses_dynamic_stack: false
    .vgpr_count:     81
    .vgpr_spill_count: 0
    .wavefront_size: 64
amdhsa.target:   amdgcn-amd-amdhsa--gfx906
amdhsa.version:
  - 1
  - 2
...

	.end_amdgpu_metadata
